;; amdgpu-corpus repo=ROCm/rocFFT kind=compiled arch=gfx1030 opt=O3
	.text
	.amdgcn_target "amdgcn-amd-amdhsa--gfx1030"
	.amdhsa_code_object_version 6
	.protected	bluestein_single_back_len512_dim1_dp_op_CI_CI ; -- Begin function bluestein_single_back_len512_dim1_dp_op_CI_CI
	.globl	bluestein_single_back_len512_dim1_dp_op_CI_CI
	.p2align	8
	.type	bluestein_single_back_len512_dim1_dp_op_CI_CI,@function
bluestein_single_back_len512_dim1_dp_op_CI_CI: ; @bluestein_single_back_len512_dim1_dp_op_CI_CI
; %bb.0:
	s_load_dwordx4 s[12:15], s[4:5], 0x28
	s_mov_b32 s7, 0
	s_mov_b32 s1, exec_lo
	s_waitcnt lgkmcnt(0)
	v_cmpx_lt_u64_e64 s[6:7], s[12:13]
	s_cbranch_execz .LBB0_2
; %bb.1:
	s_clause 0x1
	s_load_dwordx4 s[0:3], s[4:5], 0x18
	s_load_dwordx4 s[8:11], s[4:5], 0x0
	v_mov_b32_e32 v90, s7
	v_mov_b32_e32 v89, s6
	v_lshlrev_b32_e32 v90, 4, v0
	s_mov_b32 s6, 0x667f3bcd
	s_mov_b32 s7, 0xbfe6a09e
	v_lshl_or_b32 v95, v0, 3, v0
	v_or_b32_e32 v94, 0x800, v90
	v_or_b32_e32 v97, 0xc00, v90
	;; [unrolled: 1-line block ×6, first 2 shown]
	v_and_b32_e32 v95, 0x1c7, v95
	v_lshlrev_b32_e32 v95, 4, v95
	s_waitcnt lgkmcnt(0)
	s_load_dwordx4 s[16:19], s[0:1], 0x0
	s_add_u32 s12, s8, 0x2000
	s_addc_u32 s13, s9, 0
	s_waitcnt lgkmcnt(0)
	v_mad_u64_u32 v[17:18], null, s16, v0, 0
	v_mad_u64_u32 v[1:2], null, s18, v89, 0
	s_lshl_b64 s[0:1], s[16:17], 10
	v_mov_b32_e32 v3, v18
	v_mad_u64_u32 v[4:5], null, s19, v89, v[2:3]
	v_mad_u64_u32 v[5:6], null, s17, v0, v[3:4]
	v_mov_b32_e32 v2, v4
	v_lshlrev_b64 v[19:20], 4, v[1:2]
	v_mov_b32_e32 v18, v5
	s_clause 0x4
	global_load_dwordx4 v[13:16], v90, s[8:9]
	global_load_dwordx4 v[9:12], v90, s[8:9] offset:1024
	global_load_dwordx4 v[5:8], v94, s[8:9]
	global_load_dwordx4 v[1:4], v97, s[8:9]
	;; [unrolled: 1-line block ×3, first 2 shown]
	v_lshlrev_b64 v[17:18], 4, v[17:18]
	v_add_co_u32 v19, vcc_lo, s14, v19
	v_add_co_ci_u32_e32 v20, vcc_lo, s15, v20, vcc_lo
	v_add_co_u32 v25, vcc_lo, v19, v17
	v_add_co_ci_u32_e32 v26, vcc_lo, v20, v18, vcc_lo
	global_load_dwordx4 v[17:20], v93, s[8:9]
	v_add_co_u32 v27, vcc_lo, v25, s0
	v_add_co_ci_u32_e32 v28, vcc_lo, s1, v26, vcc_lo
	global_load_dwordx4 v[33:36], v[25:26], off
	v_add_co_u32 v29, vcc_lo, v27, s0
	v_add_co_ci_u32_e32 v30, vcc_lo, s1, v28, vcc_lo
	s_clause 0x1
	global_load_dwordx4 v[37:40], v[27:28], off
	global_load_dwordx4 v[41:44], v[29:30], off
	v_add_co_u32 v31, vcc_lo, v29, s0
	v_add_co_ci_u32_e32 v32, vcc_lo, s1, v30, vcc_lo
	v_add_co_u32 v25, vcc_lo, v31, s0
	v_add_co_ci_u32_e32 v26, vcc_lo, s1, v32, vcc_lo
	global_load_dwordx4 v[45:48], v[31:32], off
	v_add_co_u32 v27, vcc_lo, v25, s0
	global_load_dwordx4 v[49:52], v[25:26], off
	v_add_co_ci_u32_e32 v28, vcc_lo, s1, v26, vcc_lo
	v_add_co_u32 v29, vcc_lo, v27, s0
	v_add_co_ci_u32_e32 v30, vcc_lo, s1, v28, vcc_lo
	v_add_co_u32 v61, vcc_lo, v29, s0
	v_add_co_ci_u32_e32 v62, vcc_lo, s1, v30, vcc_lo
	global_load_dwordx4 v[53:56], v[27:28], off
	global_load_dwordx4 v[25:28], v96, s[8:9]
	global_load_dwordx4 v[57:60], v[29:30], off
	global_load_dwordx4 v[29:32], v91, s[8:9]
	global_load_dwordx4 v[61:64], v[61:62], off
	s_load_dwordx4 s[0:3], s[2:3], 0x0
	s_mov_b32 s9, 0x3fe6a09e
	s_mov_b32 s8, s6
	s_waitcnt vmcnt(9)
	v_mul_f64 v[65:66], v[35:36], v[15:16]
	v_mul_f64 v[67:68], v[33:34], v[15:16]
	s_waitcnt vmcnt(8)
	v_mul_f64 v[69:70], v[39:40], v[11:12]
	v_mul_f64 v[71:72], v[37:38], v[11:12]
	s_waitcnt vmcnt(7)
	v_mul_f64 v[73:74], v[43:44], v[7:8]
	v_mul_f64 v[75:76], v[41:42], v[7:8]
	s_waitcnt vmcnt(6)
	v_mul_f64 v[77:78], v[47:48], v[3:4]
	v_mul_f64 v[79:80], v[45:46], v[3:4]
	s_waitcnt vmcnt(5)
	v_mul_f64 v[81:82], v[51:52], v[19:20]
	v_mul_f64 v[83:84], v[49:50], v[19:20]
	v_fma_f64 v[33:34], v[33:34], v[13:14], v[65:66]
	v_fma_f64 v[35:36], v[35:36], v[13:14], -v[67:68]
	v_fma_f64 v[37:38], v[37:38], v[9:10], v[69:70]
	s_waitcnt vmcnt(4)
	v_mul_f64 v[85:86], v[55:56], v[23:24]
	v_mul_f64 v[87:88], v[53:54], v[23:24]
	s_waitcnt vmcnt(2)
	v_mul_f64 v[98:99], v[59:60], v[27:28]
	v_mul_f64 v[100:101], v[57:58], v[27:28]
	;; [unrolled: 3-line block ×3, first 2 shown]
	v_fma_f64 v[39:40], v[39:40], v[9:10], -v[71:72]
	v_fma_f64 v[41:42], v[41:42], v[5:6], v[73:74]
	v_fma_f64 v[43:44], v[43:44], v[5:6], -v[75:76]
	v_fma_f64 v[45:46], v[45:46], v[1:2], v[77:78]
	v_fma_f64 v[47:48], v[47:48], v[1:2], -v[79:80]
	v_fma_f64 v[49:50], v[49:50], v[17:18], v[81:82]
	v_fma_f64 v[51:52], v[51:52], v[17:18], -v[83:84]
	v_fma_f64 v[53:54], v[53:54], v[21:22], v[85:86]
	v_fma_f64 v[55:56], v[55:56], v[21:22], -v[87:88]
	v_fma_f64 v[57:58], v[57:58], v[25:26], v[98:99]
	v_fma_f64 v[59:60], v[59:60], v[25:26], -v[100:101]
	v_fma_f64 v[61:62], v[61:62], v[29:30], v[102:103]
	v_fma_f64 v[63:64], v[63:64], v[29:30], -v[104:105]
	v_lshlrev_b32_e32 v98, 7, v0
	ds_write_b128 v90, v[33:36]
	ds_write_b128 v90, v[37:40] offset:1024
	ds_write_b128 v90, v[41:44] offset:2048
	;; [unrolled: 1-line block ×7, first 2 shown]
	s_waitcnt lgkmcnt(0)
	s_barrier
	buffer_gl0_inv
	ds_read_b128 v[33:36], v90 offset:4096
	ds_read_b128 v[37:40], v90
	ds_read_b128 v[41:44], v90 offset:2048
	ds_read_b128 v[45:48], v90 offset:6144
	;; [unrolled: 1-line block ×6, first 2 shown]
	s_waitcnt lgkmcnt(0)
	s_barrier
	buffer_gl0_inv
	v_add_f64 v[33:34], v[37:38], -v[33:34]
	v_add_f64 v[35:36], v[39:40], -v[35:36]
	v_add_f64 v[45:46], v[41:42], -v[45:46]
	v_add_f64 v[47:48], v[43:44], -v[47:48]
	v_add_f64 v[53:54], v[49:50], -v[53:54]
	v_add_f64 v[55:56], v[51:52], -v[55:56]
	v_add_f64 v[61:62], v[57:58], -v[61:62]
	v_add_f64 v[63:64], v[59:60], -v[63:64]
	v_fma_f64 v[37:38], v[37:38], 2.0, -v[33:34]
	v_fma_f64 v[39:40], v[39:40], 2.0, -v[35:36]
	;; [unrolled: 1-line block ×6, first 2 shown]
	v_add_f64 v[65:66], v[33:34], -v[47:48]
	v_add_f64 v[67:68], v[35:36], v[45:46]
	v_fma_f64 v[45:46], v[57:58], 2.0, -v[61:62]
	v_fma_f64 v[47:48], v[59:60], 2.0, -v[63:64]
	v_add_f64 v[57:58], v[53:54], -v[63:64]
	v_add_f64 v[59:60], v[55:56], v[61:62]
	v_add_f64 v[61:62], v[37:38], -v[41:42]
	v_add_f64 v[63:64], v[39:40], -v[43:44]
	v_fma_f64 v[69:70], v[33:34], 2.0, -v[65:66]
	v_fma_f64 v[71:72], v[35:36], 2.0, -v[67:68]
	v_add_f64 v[35:36], v[49:50], -v[45:46]
	v_add_f64 v[33:34], v[51:52], -v[47:48]
	v_fma_f64 v[47:48], v[53:54], 2.0, -v[57:58]
	v_fma_f64 v[45:46], v[55:56], 2.0, -v[59:60]
	v_fma_f64 v[41:42], v[57:58], s[8:9], v[65:66]
	v_fma_f64 v[43:44], v[59:60], s[8:9], v[67:68]
	v_fma_f64 v[73:74], v[37:38], 2.0, -v[61:62]
	v_fma_f64 v[75:76], v[39:40], 2.0, -v[63:64]
	;; [unrolled: 1-line block ×4, first 2 shown]
	v_fma_f64 v[53:54], v[47:48], s[6:7], v[69:70]
	v_fma_f64 v[55:56], v[45:46], s[6:7], v[71:72]
	v_add_f64 v[33:34], v[61:62], -v[33:34]
	v_add_f64 v[35:36], v[63:64], v[35:36]
	v_fma_f64 v[37:38], v[59:60], s[6:7], v[41:42]
	v_fma_f64 v[39:40], v[57:58], s[8:9], v[43:44]
	v_add_f64 v[41:42], v[73:74], -v[49:50]
	v_add_f64 v[43:44], v[75:76], -v[51:52]
	v_fma_f64 v[45:46], v[45:46], s[6:7], v[53:54]
	v_fma_f64 v[47:48], v[47:48], s[8:9], v[55:56]
	v_fma_f64 v[49:50], v[61:62], 2.0, -v[33:34]
	v_fma_f64 v[51:52], v[63:64], 2.0, -v[35:36]
	;; [unrolled: 1-line block ×4, first 2 shown]
	v_and_b32_e32 v65, 7, v0
	v_mad_u64_u32 v[65:66], null, 0x70, v65, s[10:11]
	v_fma_f64 v[57:58], v[73:74], 2.0, -v[41:42]
	v_fma_f64 v[59:60], v[75:76], 2.0, -v[43:44]
	;; [unrolled: 1-line block ×4, first 2 shown]
	ds_write_b128 v98, v[33:36] offset:96
	ds_write_b128 v98, v[37:40] offset:112
	;; [unrolled: 1-line block ×6, first 2 shown]
	ds_write_b128 v98, v[57:60]
	ds_write_b128 v98, v[61:64] offset:16
	s_waitcnt lgkmcnt(0)
	s_barrier
	buffer_gl0_inv
	s_clause 0x6
	global_load_dwordx4 v[41:44], v[65:66], off
	global_load_dwordx4 v[37:40], v[65:66], off offset:16
	global_load_dwordx4 v[33:36], v[65:66], off offset:48
	global_load_dwordx4 v[45:48], v[65:66], off offset:80
	global_load_dwordx4 v[57:60], v[65:66], off offset:64
	global_load_dwordx4 v[53:56], v[65:66], off offset:32
	global_load_dwordx4 v[49:52], v[65:66], off offset:96
	ds_read_b128 v[61:64], v90 offset:1024
	ds_read_b128 v[65:68], v90 offset:2048
	;; [unrolled: 1-line block ×7, first 2 shown]
	ds_read_b128 v[99:102], v90
	s_waitcnt vmcnt(0) lgkmcnt(0)
	s_barrier
	buffer_gl0_inv
	v_mul_f64 v[103:104], v[63:64], v[43:44]
	v_mul_f64 v[105:106], v[61:62], v[43:44]
	;; [unrolled: 1-line block ×14, first 2 shown]
	v_fma_f64 v[61:62], v[61:62], v[41:42], -v[103:104]
	v_fma_f64 v[63:64], v[63:64], v[41:42], v[105:106]
	v_fma_f64 v[65:66], v[65:66], v[37:38], -v[107:108]
	v_fma_f64 v[67:68], v[67:68], v[37:38], v[109:110]
	;; [unrolled: 2-line block ×7, first 2 shown]
	v_add_f64 v[69:70], v[99:100], -v[69:70]
	v_add_f64 v[71:72], v[101:102], -v[71:72]
	v_add_f64 v[73:74], v[65:66], -v[73:74]
	v_add_f64 v[75:76], v[67:68], -v[75:76]
	v_add_f64 v[77:78], v[61:62], -v[77:78]
	v_add_f64 v[79:80], v[63:64], -v[79:80]
	v_add_f64 v[85:86], v[81:82], -v[85:86]
	v_add_f64 v[87:88], v[83:84], -v[87:88]
	v_fma_f64 v[99:100], v[99:100], 2.0, -v[69:70]
	v_fma_f64 v[101:102], v[101:102], 2.0, -v[71:72]
	;; [unrolled: 1-line block ×6, first 2 shown]
	v_add_f64 v[103:104], v[69:70], -v[75:76]
	v_add_f64 v[105:106], v[71:72], v[73:74]
	v_fma_f64 v[73:74], v[81:82], 2.0, -v[85:86]
	v_fma_f64 v[75:76], v[83:84], 2.0, -v[87:88]
	v_add_f64 v[81:82], v[77:78], -v[87:88]
	v_add_f64 v[83:84], v[79:80], v[85:86]
	v_add_f64 v[85:86], v[99:100], -v[65:66]
	v_add_f64 v[87:88], v[101:102], -v[67:68]
	v_fma_f64 v[107:108], v[69:70], 2.0, -v[103:104]
	v_fma_f64 v[109:110], v[71:72], 2.0, -v[105:106]
	v_add_f64 v[65:66], v[61:62], -v[73:74]
	v_add_f64 v[67:68], v[63:64], -v[75:76]
	v_fma_f64 v[75:76], v[77:78], 2.0, -v[81:82]
	v_fma_f64 v[73:74], v[79:80], 2.0, -v[83:84]
	v_fma_f64 v[69:70], v[81:82], s[8:9], v[103:104]
	v_fma_f64 v[71:72], v[83:84], s[8:9], v[105:106]
	v_fma_f64 v[99:100], v[99:100], 2.0, -v[85:86]
	v_fma_f64 v[101:102], v[101:102], 2.0, -v[87:88]
	;; [unrolled: 1-line block ×4, first 2 shown]
	v_fma_f64 v[111:112], v[75:76], s[6:7], v[107:108]
	v_fma_f64 v[113:114], v[73:74], s[6:7], v[109:110]
	v_add_f64 v[61:62], v[85:86], -v[67:68]
	v_add_f64 v[63:64], v[87:88], v[65:66]
	v_fma_f64 v[65:66], v[83:84], s[6:7], v[69:70]
	v_fma_f64 v[67:68], v[81:82], s[8:9], v[71:72]
	v_add_f64 v[69:70], v[99:100], -v[77:78]
	v_add_f64 v[71:72], v[101:102], -v[79:80]
	v_fma_f64 v[73:74], v[73:74], s[6:7], v[111:112]
	v_fma_f64 v[75:76], v[75:76], s[8:9], v[113:114]
	v_fma_f64 v[77:78], v[85:86], 2.0, -v[61:62]
	v_fma_f64 v[79:80], v[87:88], 2.0, -v[63:64]
	;; [unrolled: 1-line block ×4, first 2 shown]
	v_mad_u64_u32 v[103:104], null, 0x70, v0, s[10:11]
	v_fma_f64 v[85:86], v[99:100], 2.0, -v[69:70]
	v_fma_f64 v[87:88], v[101:102], 2.0, -v[71:72]
	;; [unrolled: 1-line block ×4, first 2 shown]
	ds_write_b128 v95, v[61:64] offset:768
	ds_write_b128 v95, v[65:68] offset:896
	ds_write_b128 v95, v[77:80] offset:256
	ds_write_b128 v95, v[81:84] offset:384
	ds_write_b128 v95, v[69:72] offset:512
	ds_write_b128 v95, v[73:76] offset:640
	ds_write_b128 v95, v[85:88]
	ds_write_b128 v95, v[99:102] offset:128
	s_waitcnt lgkmcnt(0)
	s_barrier
	buffer_gl0_inv
	s_clause 0x6
	global_load_dwordx4 v[73:76], v[103:104], off offset:896
	global_load_dwordx4 v[69:72], v[103:104], off offset:912
	global_load_dwordx4 v[61:64], v[103:104], off offset:928
	global_load_dwordx4 v[65:68], v[103:104], off offset:944
	global_load_dwordx4 v[77:80], v[103:104], off offset:960
	global_load_dwordx4 v[81:84], v[103:104], off offset:976
	global_load_dwordx4 v[85:88], v[103:104], off offset:992
	ds_read_b128 v[99:102], v90 offset:1024
	ds_read_b128 v[103:106], v90 offset:2048
	;; [unrolled: 1-line block ×7, first 2 shown]
	ds_read_b128 v[127:130], v90
	s_waitcnt vmcnt(6) lgkmcnt(7)
	v_mul_f64 v[131:132], v[101:102], v[75:76]
	v_mul_f64 v[133:134], v[99:100], v[75:76]
	s_waitcnt vmcnt(5) lgkmcnt(6)
	v_mul_f64 v[135:136], v[105:106], v[71:72]
	v_mul_f64 v[137:138], v[103:104], v[71:72]
	;; [unrolled: 3-line block ×4, first 2 shown]
	s_waitcnt vmcnt(2) lgkmcnt(3)
	v_mul_f64 v[147:148], v[117:118], v[79:80]
	s_waitcnt vmcnt(1) lgkmcnt(2)
	v_mul_f64 v[149:150], v[121:122], v[83:84]
	v_mul_f64 v[151:152], v[119:120], v[83:84]
	s_waitcnt vmcnt(0) lgkmcnt(1)
	v_mul_f64 v[153:154], v[125:126], v[87:88]
	v_fma_f64 v[99:100], v[99:100], v[73:74], -v[131:132]
	v_fma_f64 v[101:102], v[101:102], v[73:74], v[133:134]
	v_mul_f64 v[131:132], v[115:116], v[79:80]
	v_mul_f64 v[133:134], v[123:124], v[87:88]
	v_fma_f64 v[103:104], v[103:104], v[69:70], -v[135:136]
	v_fma_f64 v[105:106], v[105:106], v[69:70], v[137:138]
	v_fma_f64 v[107:108], v[107:108], v[61:62], -v[139:140]
	v_fma_f64 v[109:110], v[109:110], v[61:62], v[141:142]
	;; [unrolled: 2-line block ×3, first 2 shown]
	v_fma_f64 v[121:122], v[121:122], v[81:82], v[151:152]
	v_fma_f64 v[119:120], v[119:120], v[81:82], -v[149:150]
	v_fma_f64 v[115:116], v[115:116], v[77:78], -v[147:148]
	;; [unrolled: 1-line block ×3, first 2 shown]
	v_fma_f64 v[117:118], v[117:118], v[77:78], v[131:132]
	v_fma_f64 v[125:126], v[125:126], v[85:86], v[133:134]
	s_waitcnt lgkmcnt(0)
	v_add_f64 v[111:112], v[127:128], -v[111:112]
	v_add_f64 v[113:114], v[129:130], -v[113:114]
	;; [unrolled: 1-line block ×8, first 2 shown]
	v_fma_f64 v[127:128], v[127:128], 2.0, -v[111:112]
	v_fma_f64 v[129:130], v[129:130], 2.0, -v[113:114]
	;; [unrolled: 1-line block ×6, first 2 shown]
	v_add_f64 v[131:132], v[111:112], -v[121:122]
	v_add_f64 v[133:134], v[113:114], v[119:120]
	v_fma_f64 v[101:102], v[101:102], 2.0, -v[117:118]
	v_fma_f64 v[109:110], v[109:110], 2.0, -v[125:126]
	v_add_f64 v[119:120], v[115:116], -v[125:126]
	v_add_f64 v[121:122], v[117:118], v[123:124]
	v_add_f64 v[125:126], v[129:130], -v[105:106]
	v_add_f64 v[123:124], v[127:128], -v[103:104]
	;; [unrolled: 1-line block ×3, first 2 shown]
	v_fma_f64 v[135:136], v[111:112], 2.0, -v[131:132]
	v_fma_f64 v[137:138], v[113:114], 2.0, -v[133:134]
	v_add_f64 v[109:110], v[101:102], -v[109:110]
	v_fma_f64 v[113:114], v[115:116], 2.0, -v[119:120]
	v_fma_f64 v[111:112], v[117:118], 2.0, -v[121:122]
	v_fma_f64 v[103:104], v[119:120], s[8:9], v[131:132]
	v_fma_f64 v[105:106], v[121:122], s[8:9], v[133:134]
	v_fma_f64 v[129:130], v[129:130], 2.0, -v[125:126]
	v_fma_f64 v[127:128], v[127:128], 2.0, -v[123:124]
	;; [unrolled: 1-line block ×4, first 2 shown]
	v_fma_f64 v[139:140], v[113:114], s[6:7], v[135:136]
	v_fma_f64 v[141:142], v[111:112], s[6:7], v[137:138]
	v_add_f64 v[99:100], v[123:124], -v[109:110]
	v_add_f64 v[101:102], v[125:126], v[107:108]
	v_fma_f64 v[103:104], v[121:122], s[6:7], v[103:104]
	v_fma_f64 v[105:106], v[119:120], s[8:9], v[105:106]
	v_add_f64 v[107:108], v[127:128], -v[115:116]
	v_add_f64 v[109:110], v[129:130], -v[117:118]
	v_fma_f64 v[111:112], v[111:112], s[6:7], v[139:140]
	v_fma_f64 v[113:114], v[113:114], s[8:9], v[141:142]
	v_fma_f64 v[115:116], v[123:124], 2.0, -v[99:100]
	v_fma_f64 v[117:118], v[125:126], 2.0, -v[101:102]
	;; [unrolled: 1-line block ×8, first 2 shown]
	ds_write_b128 v90, v[99:102] offset:6144
	ds_write_b128 v90, v[103:106] offset:7168
	;; [unrolled: 1-line block ×6, first 2 shown]
	ds_write_b128 v90, v[123:126]
	ds_write_b128 v90, v[127:130] offset:1024
	s_waitcnt lgkmcnt(0)
	s_barrier
	buffer_gl0_inv
	s_clause 0x7
	global_load_dwordx4 v[99:102], v90, s[12:13]
	global_load_dwordx4 v[103:106], v90, s[12:13] offset:1024
	global_load_dwordx4 v[107:110], v94, s[12:13]
	global_load_dwordx4 v[111:114], v97, s[12:13]
	;; [unrolled: 1-line block ×6, first 2 shown]
	ds_read_b128 v[127:130], v90
	ds_read_b128 v[131:134], v90 offset:1024
	ds_read_b128 v[135:138], v90 offset:2048
	;; [unrolled: 1-line block ×3, first 2 shown]
	s_waitcnt vmcnt(7) lgkmcnt(3)
	v_mul_f64 v[96:97], v[129:130], v[101:102]
	v_mul_f64 v[101:102], v[127:128], v[101:102]
	s_waitcnt vmcnt(6) lgkmcnt(2)
	v_mul_f64 v[143:144], v[133:134], v[105:106]
	v_mul_f64 v[105:106], v[131:132], v[105:106]
	;; [unrolled: 3-line block ×3, first 2 shown]
	v_fma_f64 v[127:128], v[127:128], v[99:100], -v[96:97]
	v_fma_f64 v[129:130], v[129:130], v[99:100], v[101:102]
	ds_read_b128 v[99:102], v90 offset:4096
	s_waitcnt vmcnt(4) lgkmcnt(1)
	v_mul_f64 v[96:97], v[141:142], v[113:114]
	v_mul_f64 v[113:114], v[139:140], v[113:114]
	v_fma_f64 v[131:132], v[131:132], v[103:104], -v[143:144]
	v_fma_f64 v[133:134], v[133:134], v[103:104], v[105:106]
	ds_read_b128 v[103:106], v90 offset:5120
	v_fma_f64 v[135:136], v[135:136], v[107:108], -v[145:146]
	v_fma_f64 v[137:138], v[137:138], v[107:108], v[109:110]
	ds_read_b128 v[107:110], v90 offset:6144
	ds_read_b128 v[143:146], v90 offset:7168
	s_waitcnt vmcnt(3) lgkmcnt(3)
	v_mul_f64 v[147:148], v[101:102], v[117:118]
	v_mul_f64 v[117:118], v[99:100], v[117:118]
	v_fma_f64 v[139:140], v[139:140], v[111:112], -v[96:97]
	v_fma_f64 v[141:142], v[141:142], v[111:112], v[113:114]
	s_waitcnt vmcnt(2) lgkmcnt(2)
	v_mul_f64 v[96:97], v[105:106], v[121:122]
	v_mul_f64 v[111:112], v[103:104], v[121:122]
	s_waitcnt vmcnt(1) lgkmcnt(1)
	v_mul_f64 v[113:114], v[109:110], v[125:126]
	v_mul_f64 v[121:122], v[107:108], v[125:126]
	v_fma_f64 v[99:100], v[99:100], v[115:116], -v[147:148]
	v_fma_f64 v[101:102], v[101:102], v[115:116], v[117:118]
	s_waitcnt vmcnt(0) lgkmcnt(0)
	v_mul_f64 v[115:116], v[145:146], v[93:94]
	v_mul_f64 v[93:94], v[143:144], v[93:94]
	v_fma_f64 v[103:104], v[103:104], v[119:120], -v[96:97]
	v_fma_f64 v[105:106], v[105:106], v[119:120], v[111:112]
	v_fma_f64 v[107:108], v[107:108], v[123:124], -v[113:114]
	v_fma_f64 v[109:110], v[109:110], v[123:124], v[121:122]
	;; [unrolled: 2-line block ×3, first 2 shown]
	ds_write_b128 v90, v[127:130]
	ds_write_b128 v90, v[131:134] offset:1024
	ds_write_b128 v90, v[135:138] offset:2048
	;; [unrolled: 1-line block ×7, first 2 shown]
	s_waitcnt lgkmcnt(0)
	s_barrier
	buffer_gl0_inv
	ds_read_b128 v[91:94], v90 offset:4096
	ds_read_b128 v[99:102], v90 offset:2048
	ds_read_b128 v[103:106], v90
	ds_read_b128 v[107:110], v90 offset:6144
	ds_read_b128 v[111:114], v90 offset:1024
	;; [unrolled: 1-line block ×5, first 2 shown]
	s_waitcnt lgkmcnt(0)
	s_barrier
	buffer_gl0_inv
	v_add_f64 v[91:92], v[103:104], -v[91:92]
	v_add_f64 v[96:97], v[99:100], -v[107:108]
	;; [unrolled: 1-line block ×8, first 2 shown]
	v_fma_f64 v[103:104], v[103:104], 2.0, -v[91:92]
	v_fma_f64 v[99:100], v[99:100], 2.0, -v[96:97]
	v_fma_f64 v[101:102], v[101:102], 2.0, -v[107:108]
	v_fma_f64 v[111:112], v[111:112], 2.0, -v[109:110]
	v_fma_f64 v[113:114], v[113:114], 2.0, -v[115:116]
	v_add_f64 v[125:126], v[109:110], v[117:118]
	v_add_f64 v[127:128], v[115:116], -v[123:124]
	v_fma_f64 v[105:106], v[105:106], 2.0, -v[93:94]
	v_fma_f64 v[119:120], v[119:120], 2.0, -v[123:124]
	;; [unrolled: 1-line block ×3, first 2 shown]
	v_add_f64 v[121:122], v[91:92], v[107:108]
	v_add_f64 v[96:97], v[93:94], -v[96:97]
	v_fma_f64 v[109:110], v[109:110], 2.0, -v[125:126]
	v_fma_f64 v[107:108], v[115:116], 2.0, -v[127:128]
	v_add_f64 v[115:116], v[103:104], -v[99:100]
	v_add_f64 v[123:124], v[105:106], -v[101:102]
	;; [unrolled: 1-line block ×4, first 2 shown]
	v_fma_f64 v[129:130], v[91:92], 2.0, -v[121:122]
	v_fma_f64 v[131:132], v[93:94], 2.0, -v[96:97]
	v_fma_f64 v[117:118], v[127:128], s[8:9], v[96:97]
	v_fma_f64 v[119:120], v[125:126], s[8:9], v[121:122]
	v_fma_f64 v[133:134], v[103:104], 2.0, -v[115:116]
	v_fma_f64 v[135:136], v[105:106], 2.0, -v[123:124]
	;; [unrolled: 1-line block ×4, first 2 shown]
	v_fma_f64 v[111:112], v[109:110], s[6:7], v[129:130]
	v_fma_f64 v[113:114], v[107:108], s[6:7], v[131:132]
	v_add_f64 v[91:92], v[115:116], v[101:102]
	v_add_f64 v[93:94], v[123:124], -v[99:100]
	v_fma_f64 v[99:100], v[127:128], s[8:9], v[119:120]
	v_fma_f64 v[101:102], v[125:126], s[6:7], v[117:118]
	v_add_f64 v[103:104], v[133:134], -v[103:104]
	v_add_f64 v[105:106], v[135:136], -v[105:106]
	v_fma_f64 v[107:108], v[107:108], s[8:9], v[111:112]
	v_fma_f64 v[109:110], v[109:110], s[6:7], v[113:114]
	v_fma_f64 v[111:112], v[115:116], 2.0, -v[91:92]
	v_fma_f64 v[113:114], v[123:124], 2.0, -v[93:94]
	;; [unrolled: 1-line block ×8, first 2 shown]
	ds_write_b128 v98, v[91:94] offset:96
	ds_write_b128 v98, v[99:102] offset:112
	;; [unrolled: 1-line block ×6, first 2 shown]
	ds_write_b128 v98, v[119:122]
	ds_write_b128 v98, v[123:126] offset:16
	s_waitcnt lgkmcnt(0)
	s_barrier
	buffer_gl0_inv
	ds_read_b128 v[91:94], v90 offset:1024
	ds_read_b128 v[96:99], v90 offset:2048
	;; [unrolled: 1-line block ×7, first 2 shown]
	ds_read_b128 v[120:123], v90
	s_waitcnt lgkmcnt(0)
	s_barrier
	buffer_gl0_inv
	v_mul_f64 v[124:125], v[43:44], v[93:94]
	v_mul_f64 v[43:44], v[43:44], v[91:92]
	;; [unrolled: 1-line block ×14, first 2 shown]
	v_fma_f64 v[91:92], v[41:42], v[91:92], v[124:125]
	v_fma_f64 v[41:42], v[41:42], v[93:94], -v[43:44]
	v_fma_f64 v[43:44], v[37:38], v[96:97], v[126:127]
	v_fma_f64 v[37:38], v[37:38], v[98:99], -v[39:40]
	;; [unrolled: 2-line block ×7, first 2 shown]
	v_add_f64 v[39:40], v[120:121], -v[39:40]
	v_add_f64 v[33:34], v[122:123], -v[33:34]
	;; [unrolled: 1-line block ×8, first 2 shown]
	v_fma_f64 v[57:58], v[120:121], 2.0, -v[39:40]
	v_fma_f64 v[93:94], v[122:123], 2.0, -v[33:34]
	;; [unrolled: 1-line block ×6, first 2 shown]
	v_add_f64 v[96:97], v[39:40], v[45:46]
	v_add_f64 v[98:99], v[33:34], -v[35:36]
	v_fma_f64 v[35:36], v[59:60], 2.0, -v[55:56]
	v_fma_f64 v[45:46], v[53:54], 2.0, -v[49:50]
	v_add_f64 v[49:50], v[47:48], v[49:50]
	v_add_f64 v[53:54], v[51:52], -v[55:56]
	v_add_f64 v[55:56], v[57:58], -v[43:44]
	;; [unrolled: 1-line block ×3, first 2 shown]
	v_fma_f64 v[100:101], v[39:40], 2.0, -v[96:97]
	v_fma_f64 v[102:103], v[33:34], 2.0, -v[98:99]
	v_add_f64 v[35:36], v[91:92], -v[35:36]
	v_add_f64 v[33:34], v[41:42], -v[45:46]
	v_fma_f64 v[47:48], v[47:48], 2.0, -v[49:50]
	v_fma_f64 v[45:46], v[51:52], 2.0, -v[53:54]
	v_fma_f64 v[37:38], v[49:50], s[8:9], v[96:97]
	v_fma_f64 v[39:40], v[53:54], s[8:9], v[98:99]
	v_fma_f64 v[57:58], v[57:58], 2.0, -v[55:56]
	v_fma_f64 v[93:94], v[93:94], 2.0, -v[59:60]
	;; [unrolled: 1-line block ×4, first 2 shown]
	v_fma_f64 v[91:92], v[47:48], s[6:7], v[100:101]
	v_fma_f64 v[104:105], v[45:46], s[6:7], v[102:103]
	v_add_f64 v[33:34], v[55:56], v[33:34]
	v_add_f64 v[35:36], v[59:60], -v[35:36]
	v_fma_f64 v[37:38], v[53:54], s[8:9], v[37:38]
	v_fma_f64 v[39:40], v[49:50], s[6:7], v[39:40]
	v_add_f64 v[41:42], v[57:58], -v[43:44]
	v_add_f64 v[43:44], v[93:94], -v[51:52]
	v_fma_f64 v[45:46], v[45:46], s[8:9], v[91:92]
	v_fma_f64 v[47:48], v[47:48], s[6:7], v[104:105]
	v_fma_f64 v[49:50], v[55:56], 2.0, -v[33:34]
	v_fma_f64 v[51:52], v[59:60], 2.0, -v[35:36]
	;; [unrolled: 1-line block ×8, first 2 shown]
	ds_write_b128 v95, v[33:36] offset:768
	ds_write_b128 v95, v[37:40] offset:896
	ds_write_b128 v95, v[49:52] offset:256
	ds_write_b128 v95, v[53:56] offset:384
	ds_write_b128 v95, v[41:44] offset:512
	ds_write_b128 v95, v[45:48] offset:640
	ds_write_b128 v95, v[57:60]
	ds_write_b128 v95, v[91:94] offset:128
	s_waitcnt lgkmcnt(0)
	s_barrier
	buffer_gl0_inv
	ds_read_b128 v[33:36], v90 offset:1024
	ds_read_b128 v[37:40], v90 offset:2048
	;; [unrolled: 1-line block ×7, first 2 shown]
	ds_read_b128 v[91:94], v90
	s_waitcnt lgkmcnt(7)
	v_mul_f64 v[95:96], v[75:76], v[35:36]
	v_mul_f64 v[75:76], v[75:76], v[33:34]
	s_waitcnt lgkmcnt(6)
	v_mul_f64 v[97:98], v[71:72], v[39:40]
	v_mul_f64 v[71:72], v[71:72], v[37:38]
	;; [unrolled: 3-line block ×7, first 2 shown]
	v_fma_f64 v[33:34], v[73:74], v[33:34], v[95:96]
	v_fma_f64 v[35:36], v[73:74], v[35:36], -v[75:76]
	v_fma_f64 v[37:38], v[69:70], v[37:38], v[97:98]
	v_fma_f64 v[39:40], v[69:70], v[39:40], -v[71:72]
	;; [unrolled: 2-line block ×7, first 2 shown]
	s_waitcnt lgkmcnt(0)
	v_add_f64 v[41:42], v[91:92], -v[41:42]
	v_add_f64 v[43:44], v[93:94], -v[43:44]
	;; [unrolled: 1-line block ×8, first 2 shown]
	v_fma_f64 v[61:62], v[91:92], 2.0, -v[41:42]
	v_fma_f64 v[63:64], v[93:94], 2.0, -v[43:44]
	v_fma_f64 v[37:38], v[37:38], 2.0, -v[45:46]
	v_fma_f64 v[39:40], v[39:40], 2.0, -v[47:48]
	v_fma_f64 v[33:34], v[33:34], 2.0, -v[49:50]
	v_fma_f64 v[35:36], v[35:36], 2.0, -v[51:52]
	v_add_f64 v[65:66], v[41:42], v[47:48]
	v_add_f64 v[67:68], v[43:44], -v[45:46]
	v_fma_f64 v[45:46], v[53:54], 2.0, -v[57:58]
	v_fma_f64 v[47:48], v[55:56], 2.0, -v[59:60]
	v_add_f64 v[53:54], v[49:50], v[59:60]
	v_add_f64 v[55:56], v[51:52], -v[57:58]
	v_add_f64 v[57:58], v[61:62], -v[37:38]
	;; [unrolled: 1-line block ×3, first 2 shown]
	v_fma_f64 v[69:70], v[41:42], 2.0, -v[65:66]
	v_fma_f64 v[71:72], v[43:44], 2.0, -v[67:68]
	v_add_f64 v[37:38], v[33:34], -v[45:46]
	v_add_f64 v[39:40], v[35:36], -v[47:48]
	v_fma_f64 v[47:48], v[49:50], 2.0, -v[53:54]
	v_fma_f64 v[45:46], v[51:52], 2.0, -v[55:56]
	v_fma_f64 v[41:42], v[53:54], s[8:9], v[65:66]
	v_fma_f64 v[43:44], v[55:56], s[8:9], v[67:68]
	v_fma_f64 v[61:62], v[61:62], 2.0, -v[57:58]
	v_fma_f64 v[63:64], v[63:64], 2.0, -v[59:60]
	;; [unrolled: 1-line block ×4, first 2 shown]
	v_fma_f64 v[73:74], v[47:48], s[6:7], v[69:70]
	v_fma_f64 v[75:76], v[45:46], s[6:7], v[71:72]
	v_add_f64 v[33:34], v[57:58], v[39:40]
	v_add_f64 v[35:36], v[59:60], -v[37:38]
	v_fma_f64 v[37:38], v[55:56], s[8:9], v[41:42]
	v_fma_f64 v[39:40], v[53:54], s[6:7], v[43:44]
	v_add_f64 v[41:42], v[61:62], -v[49:50]
	v_add_f64 v[43:44], v[63:64], -v[51:52]
	v_fma_f64 v[45:46], v[45:46], s[8:9], v[73:74]
	v_fma_f64 v[47:48], v[47:48], s[6:7], v[75:76]
	v_mad_u64_u32 v[73:74], null, s2, v89, 0
	v_mad_u64_u32 v[75:76], null, s0, v0, 0
	v_fma_f64 v[49:50], v[57:58], 2.0, -v[33:34]
	v_fma_f64 v[51:52], v[59:60], 2.0, -v[35:36]
	;; [unrolled: 1-line block ×4, first 2 shown]
	v_mad_u64_u32 v[66:67], null, s3, v89, v[74:75]
	s_load_dwordx2 s[2:3], s[4:5], 0x38
	v_mov_b32_e32 v65, v76
	v_fma_f64 v[57:58], v[61:62], 2.0, -v[41:42]
	v_fma_f64 v[59:60], v[63:64], 2.0, -v[43:44]
	;; [unrolled: 1-line block ×4, first 2 shown]
	v_mov_b32_e32 v74, v66
	v_mad_u64_u32 v[67:68], null, s1, v0, v[65:66]
	ds_write_b128 v90, v[33:36] offset:6144
	ds_write_b128 v90, v[37:40] offset:7168
	;; [unrolled: 1-line block ×6, first 2 shown]
	ds_write_b128 v90, v[57:60]
	ds_write_b128 v90, v[61:64] offset:1024
	v_lshlrev_b64 v[61:62], 4, v[73:74]
	s_waitcnt lgkmcnt(0)
	s_barrier
	buffer_gl0_inv
	ds_read_b128 v[33:36], v90
	ds_read_b128 v[37:40], v90 offset:1024
	ds_read_b128 v[41:44], v90 offset:2048
	v_add_co_u32 v0, vcc_lo, s2, v61
	ds_read_b128 v[45:48], v90 offset:3072
	ds_read_b128 v[49:52], v90 offset:4096
	;; [unrolled: 1-line block ×4, first 2 shown]
	v_mov_b32_e32 v76, v67
	v_add_co_ci_u32_e32 v67, vcc_lo, s3, v62, vcc_lo
	ds_read_b128 v[61:64], v90 offset:7168
	s_lshl_b64 s[0:1], s[0:1], 10
	v_lshlrev_b64 v[65:66], 4, v[75:76]
	v_add_co_u32 v65, vcc_lo, v0, v65
	v_add_co_ci_u32_e32 v66, vcc_lo, v67, v66, vcc_lo
	s_waitcnt lgkmcnt(7)
	v_mul_f64 v[67:68], v[15:16], v[35:36]
	v_mul_f64 v[15:16], v[15:16], v[33:34]
	s_waitcnt lgkmcnt(6)
	v_mul_f64 v[69:70], v[11:12], v[39:40]
	v_mul_f64 v[11:12], v[11:12], v[37:38]
	;; [unrolled: 3-line block ×8, first 2 shown]
	v_add_co_u32 v83, vcc_lo, v65, s0
	v_add_co_ci_u32_e32 v84, vcc_lo, s1, v66, vcc_lo
	v_add_co_u32 v85, vcc_lo, v83, s0
	v_fma_f64 v[33:34], v[13:14], v[33:34], v[67:68]
	v_fma_f64 v[13:14], v[13:14], v[35:36], -v[15:16]
	v_fma_f64 v[15:16], v[9:10], v[37:38], v[69:70]
	v_fma_f64 v[9:10], v[9:10], v[39:40], -v[11:12]
	v_fma_f64 v[11:12], v[5:6], v[41:42], v[71:72]
	v_fma_f64 v[35:36], v[5:6], v[43:44], -v[7:8]
	v_fma_f64 v[37:38], v[1:2], v[45:46], v[73:74]
	v_fma_f64 v[39:40], v[1:2], v[47:48], -v[3:4]
	v_fma_f64 v[41:42], v[17:18], v[49:50], v[75:76]
	v_fma_f64 v[18:19], v[17:18], v[51:52], -v[19:20]
	v_fma_f64 v[43:44], v[21:22], v[53:54], v[77:78]
	v_fma_f64 v[22:23], v[21:22], v[55:56], -v[23:24]
	v_fma_f64 v[45:46], v[25:26], v[57:58], v[79:80]
	v_fma_f64 v[26:27], v[25:26], v[59:60], -v[27:28]
	v_fma_f64 v[47:48], v[29:30], v[61:62], v[81:82]
	v_fma_f64 v[30:31], v[29:30], v[63:64], -v[31:32]
	v_add_co_ci_u32_e32 v86, vcc_lo, s1, v84, vcc_lo
	v_add_co_u32 v49, vcc_lo, v85, s0
	v_add_co_ci_u32_e32 v50, vcc_lo, s1, v86, vcc_lo
	v_ldexp_f64 v[0:1], v[33:34], -9
	v_ldexp_f64 v[2:3], v[13:14], -9
	;; [unrolled: 1-line block ×10, first 2 shown]
	v_add_co_u32 v51, vcc_lo, v49, s0
	v_ldexp_f64 v[20:21], v[43:44], -9
	v_ldexp_f64 v[22:23], v[22:23], -9
	v_ldexp_f64 v[24:25], v[45:46], -9
	v_ldexp_f64 v[26:27], v[26:27], -9
	v_add_co_ci_u32_e32 v52, vcc_lo, s1, v50, vcc_lo
	v_ldexp_f64 v[28:29], v[47:48], -9
	v_ldexp_f64 v[30:31], v[30:31], -9
	v_add_co_u32 v32, vcc_lo, v51, s0
	v_add_co_ci_u32_e32 v33, vcc_lo, s1, v52, vcc_lo
	v_add_co_u32 v34, vcc_lo, v32, s0
	v_add_co_ci_u32_e32 v35, vcc_lo, s1, v33, vcc_lo
	;; [unrolled: 2-line block ×3, first 2 shown]
	global_store_dwordx4 v[65:66], v[0:3], off
	global_store_dwordx4 v[83:84], v[4:7], off
	global_store_dwordx4 v[85:86], v[8:11], off
	global_store_dwordx4 v[49:50], v[12:15], off
	global_store_dwordx4 v[51:52], v[16:19], off
	global_store_dwordx4 v[32:33], v[20:23], off
	global_store_dwordx4 v[34:35], v[24:27], off
	global_store_dwordx4 v[36:37], v[28:31], off
.LBB0_2:
	s_endpgm
	.section	.rodata,"a",@progbits
	.p2align	6, 0x0
	.amdhsa_kernel bluestein_single_back_len512_dim1_dp_op_CI_CI
		.amdhsa_group_segment_fixed_size 8192
		.amdhsa_private_segment_fixed_size 0
		.amdhsa_kernarg_size 104
		.amdhsa_user_sgpr_count 6
		.amdhsa_user_sgpr_private_segment_buffer 1
		.amdhsa_user_sgpr_dispatch_ptr 0
		.amdhsa_user_sgpr_queue_ptr 0
		.amdhsa_user_sgpr_kernarg_segment_ptr 1
		.amdhsa_user_sgpr_dispatch_id 0
		.amdhsa_user_sgpr_flat_scratch_init 0
		.amdhsa_user_sgpr_private_segment_size 0
		.amdhsa_wavefront_size32 1
		.amdhsa_uses_dynamic_stack 0
		.amdhsa_system_sgpr_private_segment_wavefront_offset 0
		.amdhsa_system_sgpr_workgroup_id_x 1
		.amdhsa_system_sgpr_workgroup_id_y 0
		.amdhsa_system_sgpr_workgroup_id_z 0
		.amdhsa_system_sgpr_workgroup_info 0
		.amdhsa_system_vgpr_workitem_id 0
		.amdhsa_next_free_vgpr 155
		.amdhsa_next_free_sgpr 20
		.amdhsa_reserve_vcc 1
		.amdhsa_reserve_flat_scratch 0
		.amdhsa_float_round_mode_32 0
		.amdhsa_float_round_mode_16_64 0
		.amdhsa_float_denorm_mode_32 3
		.amdhsa_float_denorm_mode_16_64 3
		.amdhsa_dx10_clamp 1
		.amdhsa_ieee_mode 1
		.amdhsa_fp16_overflow 0
		.amdhsa_workgroup_processor_mode 1
		.amdhsa_memory_ordered 1
		.amdhsa_forward_progress 0
		.amdhsa_shared_vgpr_count 0
		.amdhsa_exception_fp_ieee_invalid_op 0
		.amdhsa_exception_fp_denorm_src 0
		.amdhsa_exception_fp_ieee_div_zero 0
		.amdhsa_exception_fp_ieee_overflow 0
		.amdhsa_exception_fp_ieee_underflow 0
		.amdhsa_exception_fp_ieee_inexact 0
		.amdhsa_exception_int_div_zero 0
	.end_amdhsa_kernel
	.text
.Lfunc_end0:
	.size	bluestein_single_back_len512_dim1_dp_op_CI_CI, .Lfunc_end0-bluestein_single_back_len512_dim1_dp_op_CI_CI
                                        ; -- End function
	.section	.AMDGPU.csdata,"",@progbits
; Kernel info:
; codeLenInByte = 6636
; NumSgprs: 22
; NumVgprs: 155
; ScratchSize: 0
; MemoryBound: 0
; FloatMode: 240
; IeeeMode: 1
; LDSByteSize: 8192 bytes/workgroup (compile time only)
; SGPRBlocks: 2
; VGPRBlocks: 19
; NumSGPRsForWavesPerEU: 22
; NumVGPRsForWavesPerEU: 155
; Occupancy: 6
; WaveLimiterHint : 1
; COMPUTE_PGM_RSRC2:SCRATCH_EN: 0
; COMPUTE_PGM_RSRC2:USER_SGPR: 6
; COMPUTE_PGM_RSRC2:TRAP_HANDLER: 0
; COMPUTE_PGM_RSRC2:TGID_X_EN: 1
; COMPUTE_PGM_RSRC2:TGID_Y_EN: 0
; COMPUTE_PGM_RSRC2:TGID_Z_EN: 0
; COMPUTE_PGM_RSRC2:TIDIG_COMP_CNT: 0
	.text
	.p2alignl 6, 3214868480
	.fill 48, 4, 3214868480
	.type	__hip_cuid_39a24ba7d6995c59,@object ; @__hip_cuid_39a24ba7d6995c59
	.section	.bss,"aw",@nobits
	.globl	__hip_cuid_39a24ba7d6995c59
__hip_cuid_39a24ba7d6995c59:
	.byte	0                               ; 0x0
	.size	__hip_cuid_39a24ba7d6995c59, 1

	.ident	"AMD clang version 19.0.0git (https://github.com/RadeonOpenCompute/llvm-project roc-6.4.0 25133 c7fe45cf4b819c5991fe208aaa96edf142730f1d)"
	.section	".note.GNU-stack","",@progbits
	.addrsig
	.addrsig_sym __hip_cuid_39a24ba7d6995c59
	.amdgpu_metadata
---
amdhsa.kernels:
  - .args:
      - .actual_access:  read_only
        .address_space:  global
        .offset:         0
        .size:           8
        .value_kind:     global_buffer
      - .actual_access:  read_only
        .address_space:  global
        .offset:         8
        .size:           8
        .value_kind:     global_buffer
      - .actual_access:  read_only
        .address_space:  global
        .offset:         16
        .size:           8
        .value_kind:     global_buffer
      - .actual_access:  read_only
        .address_space:  global
        .offset:         24
        .size:           8
        .value_kind:     global_buffer
      - .actual_access:  read_only
        .address_space:  global
        .offset:         32
        .size:           8
        .value_kind:     global_buffer
      - .offset:         40
        .size:           8
        .value_kind:     by_value
      - .address_space:  global
        .offset:         48
        .size:           8
        .value_kind:     global_buffer
      - .address_space:  global
        .offset:         56
        .size:           8
        .value_kind:     global_buffer
      - .address_space:  global
        .offset:         64
        .size:           8
        .value_kind:     global_buffer
      - .address_space:  global
        .offset:         72
        .size:           8
        .value_kind:     global_buffer
      - .offset:         80
        .size:           4
        .value_kind:     by_value
      - .address_space:  global
        .offset:         88
        .size:           8
        .value_kind:     global_buffer
      - .address_space:  global
        .offset:         96
        .size:           8
        .value_kind:     global_buffer
    .group_segment_fixed_size: 8192
    .kernarg_segment_align: 8
    .kernarg_segment_size: 104
    .language:       OpenCL C
    .language_version:
      - 2
      - 0
    .max_flat_workgroup_size: 64
    .name:           bluestein_single_back_len512_dim1_dp_op_CI_CI
    .private_segment_fixed_size: 0
    .sgpr_count:     22
    .sgpr_spill_count: 0
    .symbol:         bluestein_single_back_len512_dim1_dp_op_CI_CI.kd
    .uniform_work_group_size: 1
    .uses_dynamic_stack: false
    .vgpr_count:     155
    .vgpr_spill_count: 0
    .wavefront_size: 32
    .workgroup_processor_mode: 1
amdhsa.target:   amdgcn-amd-amdhsa--gfx1030
amdhsa.version:
  - 1
  - 2
...

	.end_amdgpu_metadata
